;; amdgpu-corpus repo=ROCm/rocFFT kind=compiled arch=gfx906 opt=O3
	.text
	.amdgcn_target "amdgcn-amd-amdhsa--gfx906"
	.amdhsa_code_object_version 6
	.protected	fft_rtc_fwd_len243_factors_3_3_3_3_3_wgs_216_tpt_27_dp_op_CI_CI_sbrc_erc_z_xy_unaligned_dirReg ; -- Begin function fft_rtc_fwd_len243_factors_3_3_3_3_3_wgs_216_tpt_27_dp_op_CI_CI_sbrc_erc_z_xy_unaligned_dirReg
	.globl	fft_rtc_fwd_len243_factors_3_3_3_3_3_wgs_216_tpt_27_dp_op_CI_CI_sbrc_erc_z_xy_unaligned_dirReg
	.p2align	8
	.type	fft_rtc_fwd_len243_factors_3_3_3_3_3_wgs_216_tpt_27_dp_op_CI_CI_sbrc_erc_z_xy_unaligned_dirReg,@function
fft_rtc_fwd_len243_factors_3_3_3_3_3_wgs_216_tpt_27_dp_op_CI_CI_sbrc_erc_z_xy_unaligned_dirReg: ; @fft_rtc_fwd_len243_factors_3_3_3_3_3_wgs_216_tpt_27_dp_op_CI_CI_sbrc_erc_z_xy_unaligned_dirReg
; %bb.0:
	s_load_dwordx8 s[8:15], s[4:5], 0x0
	s_waitcnt lgkmcnt(0)
	s_load_dwordx4 s[0:3], s[12:13], 0x8
	s_load_dwordx2 s[24:25], s[4:5], 0x20
	s_load_dwordx4 s[16:19], s[14:15], 0x0
	s_load_dword s7, s[14:15], 0x10
	s_waitcnt lgkmcnt(0)
	s_add_i32 s1, s0, -1
	s_lshr_b32 s1, s1, 3
	s_add_i32 s3, s1, 1
	s_mul_i32 s2, s3, s2
	v_cvt_f32_u32_e32 v2, s2
	v_cvt_f32_u32_e32 v1, s3
	s_sub_i32 s12, 0, s2
	v_rcp_iflag_f32_e32 v2, v2
	v_rcp_iflag_f32_e32 v1, v1
	v_mul_f32_e32 v2, 0x4f7ffffe, v2
	v_cvt_u32_f32_e32 v2, v2
	v_mul_f32_e32 v1, 0x4f7ffffe, v1
	v_cvt_u32_f32_e32 v1, v1
	v_readfirstlane_b32 s19, v2
	s_mul_i32 s12, s12, s19
	s_mul_hi_u32 s12, s19, s12
	s_add_i32 s19, s19, s12
	s_mul_hi_u32 s12, s6, s19
	s_mul_i32 s19, s12, s2
	s_sub_i32 s19, s6, s19
	s_add_i32 s20, s12, 1
	s_sub_i32 s21, s19, s2
	s_cmp_ge_u32 s19, s2
	s_cselect_b32 s12, s20, s12
	s_cselect_b32 s19, s21, s19
	s_add_i32 s20, s12, 1
	s_cmp_ge_u32 s19, s2
	v_readfirstlane_b32 s13, v1
	s_cselect_b32 s26, s20, s12
	s_not_b32 s1, s1
	s_mul_i32 s1, s1, s13
	s_mul_i32 s2, s26, s2
	s_mul_hi_u32 s1, s13, s1
	s_sub_i32 s2, s6, s2
	s_add_i32 s13, s13, s1
	s_mul_hi_u32 s1, s2, s13
	s_mul_i32 s12, s1, s3
	s_sub_i32 s2, s2, s12
	s_add_i32 s19, s1, 1
	s_sub_i32 s12, s2, s3
	s_cmp_ge_u32 s2, s3
	s_cselect_b32 s1, s19, s1
	s_cselect_b32 s2, s12, s2
	s_add_i32 s12, s1, 1
	s_cmp_ge_u32 s2, s3
	s_cselect_b32 s27, s12, s1
	s_mul_hi_u32 s1, s6, s13
	s_mul_i32 s1, s1, s3
	s_sub_i32 s1, s6, s1
	s_sub_i32 s2, s1, s3
	s_cmp_ge_u32 s1, s3
	s_cselect_b32 s1, s2, s1
	s_sub_i32 s2, s1, s3
	s_cmp_ge_u32 s1, s3
	s_cselect_b32 s1, s2, s1
	s_lshl_b32 s1, s1, 3
	s_mul_i32 s2, s27, s7
	s_mul_i32 s3, s1, s18
	s_add_i32 s19, s3, s2
	s_lshl_b64 s[6:7], s[10:11], 3
	s_add_u32 s10, s14, s6
	s_addc_u32 s11, s15, s7
	s_load_dwordx2 s[22:23], s[10:11], 0x0
	s_load_dwordx2 s[20:21], s[4:5], 0x58
	s_load_dwordx4 s[12:15], s[24:25], 0x0
	s_load_dwordx2 s[2:3], s[24:25], 0x10
	s_waitcnt lgkmcnt(0)
	s_mul_i32 s3, s23, s26
	s_mul_hi_u32 s10, s22, s26
	s_add_i32 s10, s10, s3
	s_mul_i32 s3, s22, s26
	s_add_u32 s22, s3, s19
	s_addc_u32 s23, s10, 0
	s_add_u32 s6, s24, s6
	s_addc_u32 s7, s25, s7
	s_load_dwordx2 s[10:11], s[6:7], 0x0
	s_add_i32 s3, s1, 8
	s_cmp_le_u32 s3, s0
	s_cselect_b64 s[6:7], -1, 0
	s_mov_b64 s[24:25], -1
	s_and_b64 vcc, exec, s[6:7]
	s_cbranch_vccz .LBB0_2
; %bb.1:
	s_movk_i32 s3, 0x10e
	v_mul_u32_u24_sdwa v1, v0, s3 dst_sel:DWORD dst_unused:UNUSED_PAD src0_sel:WORD_0 src1_sel:DWORD
	v_lshrrev_b32_e32 v37, 16, v1
	v_mul_lo_u16_e32 v1, 0xf3, v37
	v_sub_u16_e32 v38, v0, v1
	v_mad_u64_u32 v[1:2], s[24:25], s16, v38, 0
	v_mul_lo_u32 v33, s18, v37
	v_mov_b32_e32 v34, 0
	v_mad_u64_u32 v[2:3], s[24:25], s17, v38, v[2:3]
	s_lshl_b64 s[24:25], s[22:23], 4
	s_add_u32 s3, s20, s24
	v_lshlrev_b64 v[1:2], 4, v[1:2]
	s_addc_u32 s15, s21, s25
	v_mov_b32_e32 v3, s15
	v_add_co_u32_e32 v4, vcc, s3, v1
	v_addc_co_u32_e32 v3, vcc, v3, v2, vcc
	v_lshlrev_b64 v[1:2], 4, v[33:34]
	v_mul_u32_u24_e32 v37, 0xf40, v37
	v_add_co_u32_e32 v9, vcc, v4, v1
	v_add_u16_e32 v1, 0xd8, v0
	v_addc_co_u32_e32 v10, vcc, v3, v2, vcc
	v_mul_u32_u24_e32 v2, 0x10e, v1
	v_lshrrev_b32_e32 v39, 16, v2
	v_mul_lo_u16_e32 v2, 0xf3, v39
	v_sub_u16_e32 v42, v1, v2
	v_add_u16_e32 v3, 0x1b0, v0
	v_mad_u64_u32 v[1:2], s[24:25], s16, v42, 0
	v_mul_u32_u24_e32 v5, 0x437, v3
	v_lshrrev_b32_e32 v40, 18, v5
	v_mul_lo_u16_e32 v5, 0xf3, v40
	v_sub_u16_e32 v43, v3, v5
	v_mad_u64_u32 v[2:3], s[24:25], s17, v42, v[2:3]
	v_add_u16_e32 v4, 0x288, v0
	v_mul_u32_u24_e32 v6, 0x437, v4
	v_mul_lo_u32 v33, s18, v39
	v_lshrrev_b32_e32 v41, 18, v6
	v_lshlrev_b64 v[1:2], 4, v[1:2]
	v_mul_lo_u16_e32 v6, 0xf3, v41
	v_sub_u16_e32 v44, v4, v6
	v_mov_b32_e32 v3, s15
	v_add_co_u32_e32 v4, vcc, s3, v1
	v_mad_u64_u32 v[13:14], s[24:25], s16, v43, 0
	v_addc_co_u32_e32 v3, vcc, v3, v2, vcc
	v_lshlrev_b64 v[1:2], 4, v[33:34]
	v_mul_lo_u32 v33, s18, v40
	v_add_co_u32_e32 v11, vcc, v4, v1
	v_addc_co_u32_e32 v12, vcc, v3, v2, vcc
	global_load_dwordx4 v[1:4], v[9:10], off
	global_load_dwordx4 v[5:8], v[11:12], off
	v_mov_b32_e32 v11, v14
	v_mad_u64_u32 v[11:12], s[24:25], s17, v43, v[11:12]
	v_mad_u64_u32 v[9:10], s[24:25], s16, v44, 0
	v_mov_b32_e32 v14, v11
	v_lshlrev_b32_e32 v38, 4, v38
	v_mad_u64_u32 v[15:16], s[24:25], s17, v44, v[10:11]
	v_lshlrev_b64 v[11:12], 4, v[13:14]
	v_mov_b32_e32 v16, s15
	v_add_co_u32_e32 v13, vcc, s3, v11
	v_addc_co_u32_e32 v14, vcc, v16, v12, vcc
	v_lshlrev_b64 v[11:12], 4, v[33:34]
	v_mov_b32_e32 v10, v15
	v_add_co_u32_e32 v17, vcc, v13, v11
	v_addc_co_u32_e32 v18, vcc, v14, v12, vcc
	v_add_u16_e32 v12, 0x360, v0
	v_mul_u32_u24_e32 v13, 0x437, v12
	v_lshrrev_b32_e32 v45, 18, v13
	v_mul_lo_u16_e32 v13, 0xf3, v45
	v_sub_u16_e32 v46, v12, v13
	v_mad_u64_u32 v[19:20], s[24:25], s16, v46, 0
	v_lshlrev_b64 v[9:10], 4, v[9:10]
	v_mul_lo_u32 v33, s18, v41
	v_mov_b32_e32 v11, s15
	v_add_co_u32_e32 v12, vcc, s3, v9
	v_addc_co_u32_e32 v13, vcc, v11, v10, vcc
	v_mov_b32_e32 v11, v20
	v_mad_u64_u32 v[20:21], s[24:25], s17, v46, v[11:12]
	v_lshlrev_b64 v[9:10], 4, v[33:34]
	v_mul_lo_u32 v33, s18, v45
	v_add_co_u32_e32 v21, vcc, v12, v9
	v_addc_co_u32_e32 v22, vcc, v13, v10, vcc
	global_load_dwordx4 v[9:12], v[17:18], off
	global_load_dwordx4 v[13:16], v[21:22], off
	v_lshlrev_b64 v[17:18], 4, v[19:20]
	v_add_u16_e32 v19, 0x438, v0
	v_mul_u32_u24_e32 v20, 0x437, v19
	v_lshrrev_b32_e32 v47, 18, v20
	v_mul_lo_u16_e32 v20, 0xf3, v47
	v_sub_u16_e32 v48, v19, v20
	v_mad_u64_u32 v[19:20], s[24:25], s16, v48, 0
	v_mov_b32_e32 v21, s15
	v_add_co_u32_e32 v22, vcc, s3, v17
	v_addc_co_u32_e32 v23, vcc, v21, v18, vcc
	v_mad_u64_u32 v[20:21], s[24:25], s17, v48, v[20:21]
	v_lshlrev_b64 v[17:18], 4, v[33:34]
	v_mul_lo_u32 v33, s18, v47
	v_add_co_u32_e32 v25, vcc, v22, v17
	v_addc_co_u32_e32 v26, vcc, v23, v18, vcc
	v_lshlrev_b64 v[17:18], 4, v[19:20]
	v_add_u16_e32 v20, 0x510, v0
	v_mul_u32_u24_e32 v21, 0x437, v20
	v_lshrrev_b32_e32 v49, 18, v21
	v_mul_lo_u16_e32 v21, 0xf3, v49
	v_sub_u16_e32 v50, v20, v21
	v_mad_u64_u32 v[27:28], s[24:25], s16, v50, 0
	v_mov_b32_e32 v19, s15
	v_add_co_u32_e32 v20, vcc, s3, v17
	v_addc_co_u32_e32 v21, vcc, v19, v18, vcc
	v_mov_b32_e32 v19, v28
	v_mad_u64_u32 v[28:29], s[24:25], s17, v50, v[19:20]
	v_lshlrev_b64 v[17:18], 4, v[33:34]
	v_mul_lo_u32 v33, s18, v49
	v_add_co_u32_e32 v29, vcc, v20, v17
	v_addc_co_u32_e32 v30, vcc, v21, v18, vcc
	global_load_dwordx4 v[17:20], v[25:26], off
	global_load_dwordx4 v[21:24], v[29:30], off
	v_lshlrev_b64 v[25:26], 4, v[27:28]
	v_add_u16_e32 v27, 0x5e8, v0
	v_mul_u32_u24_e32 v28, 0x437, v27
	v_lshrrev_b32_e32 v51, 18, v28
	v_mul_lo_u16_e32 v28, 0xf3, v51
	v_sub_u16_e32 v52, v27, v28
	v_mad_u64_u32 v[27:28], s[24:25], s16, v52, 0
	v_mov_b32_e32 v29, s15
	v_add_co_u32_e32 v30, vcc, s3, v25
	v_addc_co_u32_e32 v31, vcc, v29, v26, vcc
	v_lshlrev_b64 v[25:26], 4, v[33:34]
	v_mad_u64_u32 v[28:29], s[24:25], s17, v52, v[28:29]
	v_add_u16_e32 v29, 0x6c0, v0
	v_add_co_u32_e32 v25, vcc, v30, v25
	v_mul_u32_u24_e32 v30, 0x437, v29
	v_lshrrev_b32_e32 v53, 18, v30
	v_mul_lo_u16_e32 v30, 0xf3, v53
	v_sub_u16_e32 v54, v29, v30
	v_mad_u64_u32 v[29:30], s[24:25], s16, v54, 0
	v_lshlrev_b64 v[27:28], 4, v[27:28]
	v_addc_co_u32_e32 v26, vcc, v31, v26, vcc
	v_mul_lo_u32 v33, s18, v51
	v_mov_b32_e32 v31, s15
	v_add_co_u32_e32 v32, vcc, s3, v27
	v_addc_co_u32_e32 v35, vcc, v31, v28, vcc
	v_mad_u64_u32 v[30:31], s[24:25], s17, v54, v[30:31]
	v_lshlrev_b64 v[27:28], 4, v[33:34]
	v_mul_lo_u32 v33, s18, v53
	v_add_co_u32_e32 v31, vcc, v32, v27
	v_lshlrev_b64 v[29:30], 4, v[29:30]
	v_addc_co_u32_e32 v32, vcc, v35, v28, vcc
	global_load_dwordx4 v[25:28], v[25:26], off
	v_mov_b32_e32 v35, s15
	v_add_co_u32_e32 v36, vcc, s3, v29
	v_lshlrev_b64 v[33:34], 4, v[33:34]
	v_addc_co_u32_e32 v35, vcc, v35, v30, vcc
	global_load_dwordx4 v[29:32], v[31:32], off
	v_add_co_u32_e32 v33, vcc, v36, v33
	v_addc_co_u32_e32 v34, vcc, v35, v34, vcc
	global_load_dwordx4 v[33:36], v[33:34], off
	v_add3_u32 v37, 0, v37, v38
	s_waitcnt vmcnt(8)
	ds_write_b128 v37, v[1:4]
	v_mul_u32_u24_e32 v1, 0xf40, v39
	v_lshlrev_b32_e32 v3, 4, v42
	v_mul_u32_u24_e32 v2, 0xf40, v40
	v_lshlrev_b32_e32 v4, 4, v43
	v_add3_u32 v1, 0, v1, v3
	s_waitcnt vmcnt(7)
	ds_write_b128 v1, v[5:8]
	v_add3_u32 v1, 0, v2, v4
	s_waitcnt vmcnt(6)
	ds_write_b128 v1, v[9:12]
	v_mul_u32_u24_e32 v1, 0xf40, v41
	v_lshlrev_b32_e32 v2, 4, v44
	v_add3_u32 v1, 0, v1, v2
	s_waitcnt vmcnt(5)
	ds_write_b128 v1, v[13:16]
	v_mul_u32_u24_e32 v1, 0xf40, v45
	v_lshlrev_b32_e32 v2, 4, v46
	v_add3_u32 v1, 0, v1, v2
	v_lshlrev_b32_e32 v2, 4, v48
	s_mov_b64 s[24:25], 0
	s_waitcnt vmcnt(4)
	ds_write_b128 v1, v[17:20]
	v_mul_u32_u24_e32 v1, 0xf40, v47
	v_add3_u32 v1, 0, v1, v2
	s_waitcnt vmcnt(3)
	ds_write_b128 v1, v[21:24]
	v_mul_u32_u24_e32 v1, 0xf40, v49
	v_lshlrev_b32_e32 v2, 4, v50
	v_add3_u32 v1, 0, v1, v2
	v_lshlrev_b32_e32 v2, 4, v52
	s_waitcnt vmcnt(2)
	ds_write_b128 v1, v[25:28]
	v_mul_u32_u24_e32 v1, 0xf40, v51
	v_add3_u32 v1, 0, v1, v2
	v_lshlrev_b32_e32 v2, 4, v54
	s_waitcnt vmcnt(1)
	ds_write_b128 v1, v[29:32]
	v_mul_u32_u24_e32 v1, 0xf40, v53
	v_add3_u32 v1, 0, v1, v2
	s_waitcnt vmcnt(0)
	ds_write_b128 v1, v[33:36]
.LBB0_2:
	s_load_dwordx2 s[4:5], s[4:5], 0x60
	s_andn2_b64 vcc, exec, s[24:25]
	s_cbranch_vccnz .LBB0_6
; %bb.3:
	s_lshl_b64 s[22:23], s[22:23], 4
	s_add_u32 s3, s20, s22
	s_addc_u32 s19, s21, s23
	s_mov_b64 s[20:21], 0
	s_movk_i32 s15, 0xdb3
	v_mov_b32_e32 v2, 0
	v_mov_b32_e32 v3, s19
	s_movk_i32 s19, 0x797
	v_mov_b32_e32 v4, v0
.LBB0_4:                                ; =>This Inner Loop Header: Depth=1
	v_mul_u32_u24_sdwa v1, v4, s15 dst_sel:DWORD dst_unused:UNUSED_PAD src0_sel:WORD_0 src1_sel:DWORD
	v_sub_u16_sdwa v5, v4, v1 dst_sel:DWORD dst_unused:UNUSED_PAD src0_sel:DWORD src1_sel:WORD_1
	v_lshrrev_b16_e32 v5, 1, v5
	v_add_u16_sdwa v1, v5, v1 dst_sel:DWORD dst_unused:UNUSED_PAD src0_sel:DWORD src1_sel:WORD_1
	v_lshrrev_b16_e32 v11, 7, v1
	v_mul_lo_u16_e32 v5, 0xf3, v11
	v_sub_u16_e32 v12, v4, v5
	v_mul_lo_u32 v1, v11, s18
	v_mad_u64_u32 v[5:6], s[22:23], s16, v12, 0
	v_add_u32_e32 v4, 0xd8, v4
	v_lshlrev_b64 v[7:8], 4, v[1:2]
	v_mov_b32_e32 v1, v6
	v_mad_u64_u32 v[9:10], s[22:23], s17, v12, v[1:2]
	v_mov_b32_e32 v6, v9
	v_lshlrev_b64 v[5:6], 4, v[5:6]
	v_lshlrev_b32_e32 v9, 4, v12
	v_add_co_u32_e32 v1, vcc, s3, v5
	v_addc_co_u32_e32 v6, vcc, v3, v6, vcc
	v_add_co_u32_e32 v5, vcc, v1, v7
	v_addc_co_u32_e32 v6, vcc, v6, v8, vcc
	global_load_dwordx4 v[5:8], v[5:6], off
	v_mul_u32_u24_e32 v1, 0xf40, v11
	v_cmp_lt_u32_e32 vcc, s19, v4
	v_add3_u32 v1, 0, v1, v9
	s_or_b64 s[20:21], vcc, s[20:21]
	s_waitcnt vmcnt(0)
	ds_write_b128 v1, v[5:8]
	s_andn2_b64 exec, exec, s[20:21]
	s_cbranch_execnz .LBB0_4
; %bb.5:
	s_or_b64 exec, exec, s[20:21]
.LBB0_6:
	s_movk_i32 s3, 0x97c
	v_mul_u32_u24_sdwa v1, v0, s3 dst_sel:DWORD dst_unused:UNUSED_PAD src0_sel:WORD_0 src1_sel:DWORD
	s_mov_b32 s3, 0x97b425f
	v_mul_hi_u32 v2, v0, s3
	v_mov_b32_e32 v3, 7
	v_and_b32_sdwa v1, v1, v3 dst_sel:DWORD dst_unused:UNUSED_PAD src0_sel:WORD_1 src1_sel:DWORD
	v_mul_lo_u16_e32 v1, 0xf4, v1
	v_mul_u32_u24_e32 v2, 27, v2
	v_sub_u32_e32 v8, v0, v2
	v_lshlrev_b32_e32 v7, 4, v1
	v_add_u32_e32 v3, 0, v7
	v_lshlrev_b32_e32 v1, 4, v8
	v_add_u32_e32 v2, v3, v1
	v_add3_u32 v1, 0, v1, v7
	s_waitcnt lgkmcnt(0)
	s_barrier
	ds_read_b128 v[9:12], v1 offset:1296
	ds_read_b128 v[13:16], v2
	ds_read_b128 v[17:20], v1 offset:432
	ds_read_b128 v[21:24], v1 offset:864
	;; [unrolled: 1-line block ×6, first 2 shown]
	s_waitcnt lgkmcnt(6)
	v_add_f64 v[4:5], v[13:14], v[9:10]
	v_add_f64 v[43:44], v[15:16], v[11:12]
	s_waitcnt lgkmcnt(3)
	v_add_f64 v[45:46], v[17:18], v[25:26]
	s_waitcnt lgkmcnt(2)
	v_add_f64 v[47:48], v[9:10], v[29:30]
	v_add_f64 v[49:50], v[11:12], -v[31:32]
	v_add_f64 v[51:52], v[11:12], v[31:32]
	v_add_f64 v[53:54], v[9:10], -v[29:30]
	s_waitcnt lgkmcnt(1)
	v_add_f64 v[55:56], v[23:24], v[35:36]
	v_add_f64 v[41:42], v[4:5], v[29:30]
	;; [unrolled: 1-line block ×4, first 2 shown]
	ds_read_b128 v[29:32], v1 offset:3456
	s_waitcnt lgkmcnt(1)
	v_add_f64 v[9:10], v[45:46], v[37:38]
	v_add_f64 v[45:46], v[21:22], v[33:34]
	v_add_f64 v[57:58], v[27:28], -v[39:40]
	s_mov_b32 s16, 0xe8584caa
	s_waitcnt lgkmcnt(0)
	v_add_f64 v[59:60], v[35:36], v[31:32]
	v_add_f64 v[11:12], v[4:5], v[39:40]
	;; [unrolled: 1-line block ×3, first 2 shown]
	v_add_f64 v[37:38], v[25:26], -v[37:38]
	v_add_f64 v[61:62], v[33:34], -v[29:30]
	v_add_f64 v[25:26], v[45:46], v[29:30]
	v_add_f64 v[45:46], v[33:34], v[29:30]
	v_fma_f64 v[29:30], v[47:48], -0.5, v[13:14]
	v_add_f64 v[39:40], v[27:28], v[39:40]
	v_add_f64 v[27:28], v[55:56], v[31:32]
	v_fma_f64 v[4:5], v[4:5], -0.5, v[17:18]
	v_add_f64 v[55:56], v[35:36], -v[31:32]
	v_fma_f64 v[31:32], v[51:52], -0.5, v[15:16]
	s_mov_b32 s17, 0x3febb67a
	s_mov_b32 s19, 0xbfebb67a
	s_mov_b32 s18, s16
	v_fma_f64 v[13:14], v[49:50], s[16:17], v[29:30]
	v_fma_f64 v[17:18], v[49:50], s[18:19], v[29:30]
	;; [unrolled: 1-line block ×4, first 2 shown]
	v_fma_f64 v[5:6], v[45:46], -0.5, v[21:22]
	v_fma_f64 v[21:22], v[59:60], -0.5, v[23:24]
	;; [unrolled: 1-line block ×3, first 2 shown]
	v_fma_f64 v[15:16], v[53:54], s[18:19], v[31:32]
	v_lshlrev_b32_e32 v4, 5, v8
	v_fma_f64 v[19:20], v[53:54], s[16:17], v[31:32]
	v_add_u32_e32 v23, v1, v4
	s_barrier
	ds_write_b128 v23, v[41:44]
	ds_write_b128 v23, v[13:16] offset:16
	v_fma_f64 v[13:14], v[55:56], s[16:17], v[5:6]
	v_fma_f64 v[15:16], v[61:62], s[18:19], v[21:22]
	;; [unrolled: 1-line block ×6, first 2 shown]
	ds_write_b128 v23, v[17:20] offset:32
	ds_write_b128 v23, v[9:12] offset:1296
	;; [unrolled: 1-line block ×5, first 2 shown]
	v_add_u32_e32 v9, 0x800, v23
	ds_write2_b64 v9, v[13:14], v[15:16] offset0:70 offset1:71
	ds_write2_b64 v9, v[5:6], v[21:22] offset0:72 offset1:73
	v_mul_lo_u16_e32 v5, 0x56, v8
	v_lshrrev_b16_e32 v58, 8, v5
	v_mul_lo_u16_e32 v5, 3, v58
	v_sub_u16_e32 v59, v8, v5
	v_mov_b32_e32 v9, 5
	v_lshlrev_b32_sdwa v5, v9, v59 dst_sel:DWORD dst_unused:UNUSED_PAD src0_sel:DWORD src1_sel:BYTE_0
	s_waitcnt lgkmcnt(0)
	s_barrier
	global_load_dwordx4 v[10:13], v5, s[8:9]
	global_load_dwordx4 v[14:17], v5, s[8:9] offset:16
	v_add_u32_e32 v5, 27, v8
	v_mul_lo_u16_e32 v6, 0x56, v5
	v_lshrrev_b16_e32 v60, 8, v6
	v_mul_lo_u16_e32 v6, 3, v60
	v_sub_u16_e32 v61, v5, v6
	v_lshlrev_b32_sdwa v6, v9, v61 dst_sel:DWORD dst_unused:UNUSED_PAD src0_sel:DWORD src1_sel:BYTE_0
	global_load_dwordx4 v[18:21], v6, s[8:9]
	global_load_dwordx4 v[22:25], v6, s[8:9] offset:16
	v_add_u32_e32 v6, 54, v8
	v_mul_lo_u16_e32 v26, 0x56, v6
	v_lshrrev_b16_e32 v62, 8, v26
	v_mul_lo_u16_e32 v26, 3, v62
	v_sub_u16_e32 v63, v6, v26
	v_lshlrev_b32_sdwa v34, v9, v63 dst_sel:DWORD dst_unused:UNUSED_PAD src0_sel:DWORD src1_sel:BYTE_0
	global_load_dwordx4 v[26:29], v34, s[8:9]
	global_load_dwordx4 v[30:33], v34, s[8:9] offset:16
	ds_read_b128 v[34:37], v1 offset:1296
	ds_read_b128 v[38:41], v1 offset:864
	;; [unrolled: 1-line block ×4, first 2 shown]
	s_movk_i32 s3, 0x90
	s_mul_i32 s27, s27, s14
	s_waitcnt vmcnt(5) lgkmcnt(3)
	v_mul_f64 v[50:51], v[36:37], v[12:13]
	v_mul_f64 v[12:13], v[34:35], v[12:13]
	v_fma_f64 v[34:35], v[34:35], v[10:11], -v[50:51]
	s_waitcnt vmcnt(4) lgkmcnt(1)
	v_mul_f64 v[50:51], v[44:45], v[16:17]
	v_mul_f64 v[16:17], v[42:43], v[16:17]
	v_fma_f64 v[36:37], v[36:37], v[10:11], v[12:13]
	ds_read_b128 v[10:13], v1 offset:1728
	v_fma_f64 v[42:43], v[42:43], v[14:15], -v[50:51]
	v_fma_f64 v[44:45], v[44:45], v[14:15], v[16:17]
	ds_read_b128 v[14:17], v1 offset:2160
	s_waitcnt vmcnt(3) lgkmcnt(1)
	v_mul_f64 v[50:51], v[12:13], v[20:21]
	v_mul_f64 v[20:21], v[10:11], v[20:21]
	v_fma_f64 v[50:51], v[10:11], v[18:19], -v[50:51]
	v_fma_f64 v[52:53], v[12:13], v[18:19], v[20:21]
	s_waitcnt vmcnt(2)
	v_mul_f64 v[10:11], v[48:49], v[24:25]
	v_mul_f64 v[12:13], v[46:47], v[24:25]
	s_waitcnt vmcnt(1) lgkmcnt(0)
	v_mul_f64 v[18:19], v[16:17], v[28:29]
	v_mul_f64 v[20:21], v[14:15], v[28:29]
	v_add_f64 v[24:25], v[34:35], v[42:43]
	v_add_f64 v[28:29], v[36:37], -v[44:45]
	v_fma_f64 v[46:47], v[46:47], v[22:23], -v[10:11]
	v_fma_f64 v[48:49], v[48:49], v[22:23], v[12:13]
	ds_read_b128 v[10:13], v1 offset:3456
	v_fma_f64 v[54:55], v[14:15], v[26:27], -v[18:19]
	s_waitcnt vmcnt(0) lgkmcnt(0)
	v_mul_f64 v[18:19], v[12:13], v[32:33]
	v_mul_f64 v[22:23], v[10:11], v[32:33]
	v_fma_f64 v[32:33], v[16:17], v[26:27], v[20:21]
	v_add_f64 v[26:27], v[36:37], v[44:45]
	ds_read_b128 v[14:17], v2
	v_fma_f64 v[56:57], v[10:11], v[30:31], -v[18:19]
	ds_read_b128 v[18:21], v1 offset:432
	s_waitcnt lgkmcnt(1)
	v_add_f64 v[10:11], v[16:17], v[36:37]
	v_fma_f64 v[30:31], v[12:13], v[30:31], v[22:23]
	v_fma_f64 v[24:25], v[24:25], -0.5, v[14:15]
	v_add_f64 v[22:23], v[14:15], v[34:35]
	v_fma_f64 v[15:16], v[26:27], -0.5, v[16:17]
	v_add_f64 v[34:35], v[34:35], -v[42:43]
	v_mad_u32_u24 v17, v58, s3, 0
	s_waitcnt lgkmcnt(0)
	v_add_f64 v[13:14], v[10:11], v[44:45]
	v_mov_b32_e32 v10, 4
	v_fma_f64 v[26:27], v[28:29], s[18:19], v[24:25]
	v_add_f64 v[11:12], v[22:23], v[42:43]
	v_fma_f64 v[22:23], v[28:29], s[16:17], v[24:25]
	v_fma_f64 v[24:25], v[34:35], s[18:19], v[15:16]
	;; [unrolled: 1-line block ×3, first 2 shown]
	v_lshlrev_b32_sdwa v34, v10, v59 dst_sel:DWORD dst_unused:UNUSED_PAD src0_sel:DWORD src1_sel:BYTE_0
	v_add_f64 v[15:16], v[50:51], v[46:47]
	v_add3_u32 v42, v17, v34, v7
	v_add_f64 v[34:35], v[52:53], v[48:49]
	s_barrier
	ds_write_b128 v42, v[11:14]
	v_add_f64 v[11:12], v[20:21], v[52:53]
	ds_write_b128 v42, v[22:25] offset:48
	v_fma_f64 v[36:37], v[15:16], -0.5, v[18:19]
	v_add_f64 v[15:16], v[18:19], v[50:51]
	v_add_f64 v[17:18], v[52:53], -v[48:49]
	v_fma_f64 v[21:22], v[34:35], -0.5, v[20:21]
	v_add_f64 v[23:24], v[50:51], -v[46:47]
	ds_write_b128 v42, v[26:29] offset:96
	v_add_f64 v[25:26], v[54:55], v[56:57]
	v_add_f64 v[27:28], v[32:33], v[30:31]
	;; [unrolled: 1-line block ×4, first 2 shown]
	v_fma_f64 v[15:16], v[17:18], s[16:17], v[36:37]
	v_fma_f64 v[19:20], v[17:18], s[18:19], v[36:37]
	;; [unrolled: 1-line block ×4, first 2 shown]
	v_add_f64 v[23:24], v[40:41], v[32:33]
	v_add_f64 v[34:35], v[38:39], v[54:55]
	v_fma_f64 v[25:26], v[25:26], -0.5, v[38:39]
	v_add_f64 v[32:33], v[32:33], -v[30:31]
	v_fma_f64 v[36:37], v[27:28], -0.5, v[40:41]
	v_add_f64 v[38:39], v[54:55], -v[56:57]
	v_mad_u32_u24 v29, v60, s3, 0
	v_lshlrev_b32_sdwa v27, v10, v61 dst_sel:DWORD dst_unused:UNUSED_PAD src0_sel:DWORD src1_sel:BYTE_0
	v_add3_u32 v40, v29, v27, v7
	ds_write_b128 v40, v[11:14]
	v_add_f64 v[13:14], v[23:24], v[30:31]
	v_add_f64 v[11:12], v[34:35], v[56:57]
	v_fma_f64 v[23:24], v[32:33], s[16:17], v[25:26]
	v_fma_f64 v[27:28], v[32:33], s[18:19], v[25:26]
	;; [unrolled: 1-line block ×4, first 2 shown]
	ds_write_b128 v40, v[15:18] offset:48
	ds_write_b128 v40, v[19:22] offset:96
	v_mad_u32_u24 v15, v62, s3, 0
	v_lshlrev_b32_sdwa v16, v10, v63 dst_sel:DWORD dst_unused:UNUSED_PAD src0_sel:DWORD src1_sel:BYTE_0
	v_add3_u32 v15, v15, v16, v7
	ds_write_b128 v15, v[11:14]
	ds_write_b128 v15, v[23:26] offset:48
	ds_write_b128 v15, v[27:30] offset:96
	v_mul_lo_u16_e32 v11, 29, v8
	v_lshrrev_b16_e32 v53, 8, v11
	v_mul_lo_u16_e32 v11, 9, v53
	v_sub_u16_e32 v54, v8, v11
	v_lshlrev_b32_sdwa v8, v9, v54 dst_sel:DWORD dst_unused:UNUSED_PAD src0_sel:DWORD src1_sel:BYTE_0
	s_waitcnt lgkmcnt(0)
	s_barrier
	global_load_dwordx4 v[11:14], v8, s[8:9] offset:96
	global_load_dwordx4 v[15:18], v8, s[8:9] offset:112
	v_mul_lo_u16_e32 v8, 57, v5
	v_lshrrev_b16_e32 v55, 9, v8
	v_mul_lo_u16_e32 v8, 9, v55
	v_sub_u16_e32 v56, v5, v8
	v_lshlrev_b32_sdwa v8, v9, v56 dst_sel:DWORD dst_unused:UNUSED_PAD src0_sel:DWORD src1_sel:BYTE_0
	global_load_dwordx4 v[19:22], v8, s[8:9] offset:96
	global_load_dwordx4 v[23:26], v8, s[8:9] offset:112
	v_mul_lo_u16_e32 v8, 57, v6
	v_lshrrev_b16_e32 v57, 9, v8
	v_mul_lo_u16_e32 v8, 9, v57
	v_sub_u16_e32 v58, v6, v8
	v_lshlrev_b32_sdwa v8, v9, v58 dst_sel:DWORD dst_unused:UNUSED_PAD src0_sel:DWORD src1_sel:BYTE_0
	global_load_dwordx4 v[27:30], v8, s[8:9] offset:96
	global_load_dwordx4 v[31:34], v8, s[8:9] offset:112
	ds_read_b128 v[35:38], v1 offset:1296
	ds_read_b128 v[39:42], v1 offset:864
	;; [unrolled: 1-line block ×4, first 2 shown]
	s_movk_i32 s3, 0x1b0
	s_waitcnt vmcnt(5) lgkmcnt(3)
	v_mul_f64 v[8:9], v[37:38], v[13:14]
	v_mul_f64 v[13:14], v[35:36], v[13:14]
	v_fma_f64 v[8:9], v[35:36], v[11:12], -v[8:9]
	v_fma_f64 v[35:36], v[37:38], v[11:12], v[13:14]
	s_waitcnt vmcnt(4) lgkmcnt(1)
	v_mul_f64 v[37:38], v[45:46], v[17:18]
	v_mul_f64 v[17:18], v[43:44], v[17:18]
	ds_read_b128 v[11:14], v1 offset:1728
	v_fma_f64 v[37:38], v[43:44], v[15:16], -v[37:38]
	v_fma_f64 v[43:44], v[45:46], v[15:16], v[17:18]
	ds_read_b128 v[15:18], v1 offset:2160
	s_waitcnt vmcnt(3) lgkmcnt(1)
	v_mul_f64 v[45:46], v[13:14], v[21:22]
	v_mul_f64 v[21:22], v[11:12], v[21:22]
	v_fma_f64 v[45:46], v[11:12], v[19:20], -v[45:46]
	v_fma_f64 v[51:52], v[13:14], v[19:20], v[21:22]
	s_waitcnt vmcnt(2)
	v_mul_f64 v[11:12], v[49:50], v[25:26]
	v_mul_f64 v[13:14], v[47:48], v[25:26]
	s_waitcnt vmcnt(1) lgkmcnt(0)
	v_mul_f64 v[19:20], v[17:18], v[29:30]
	v_mul_f64 v[21:22], v[15:16], v[29:30]
	v_add_f64 v[25:26], v[35:36], v[43:44]
	v_fma_f64 v[47:48], v[47:48], v[23:24], -v[11:12]
	v_fma_f64 v[49:50], v[49:50], v[23:24], v[13:14]
	ds_read_b128 v[11:14], v1 offset:3456
	v_fma_f64 v[29:30], v[15:16], v[27:28], -v[19:20]
	v_fma_f64 v[27:28], v[17:18], v[27:28], v[21:22]
	v_add_f64 v[21:22], v[8:9], v[37:38]
	ds_read_b128 v[15:18], v2
	s_waitcnt vmcnt(0) lgkmcnt(1)
	v_mul_f64 v[19:20], v[13:14], v[33:34]
	v_mul_f64 v[23:24], v[11:12], v[33:34]
	v_fma_f64 v[33:34], v[11:12], v[31:32], -v[19:20]
	v_fma_f64 v[31:32], v[13:14], v[31:32], v[23:24]
	ds_read_b128 v[11:14], v1 offset:432
	s_waitcnt lgkmcnt(1)
	v_fma_f64 v[21:22], v[21:22], -0.5, v[15:16]
	v_add_f64 v[19:20], v[17:18], v[35:36]
	v_add_f64 v[15:16], v[15:16], v[8:9]
	v_add_f64 v[23:24], v[35:36], -v[43:44]
	v_fma_f64 v[25:26], v[25:26], -0.5, v[17:18]
	v_add_f64 v[8:9], v[8:9], -v[37:38]
	v_mad_u32_u24 v35, v53, s3, 0
	v_lshlrev_b32_sdwa v36, v10, v54 dst_sel:DWORD dst_unused:UNUSED_PAD src0_sel:DWORD src1_sel:BYTE_0
	s_waitcnt lgkmcnt(0)
	v_add_f64 v[17:18], v[19:20], v[43:44]
	v_add_f64 v[15:16], v[15:16], v[37:38]
	v_fma_f64 v[19:20], v[23:24], s[16:17], v[21:22]
	v_fma_f64 v[23:24], v[23:24], s[18:19], v[21:22]
	;; [unrolled: 1-line block ×4, first 2 shown]
	v_add_f64 v[8:9], v[45:46], v[47:48]
	v_add3_u32 v37, v35, v36, v7
	v_add_f64 v[35:36], v[51:52], v[49:50]
	s_barrier
	ds_write_b128 v37, v[15:18]
	v_add_f64 v[15:16], v[13:14], v[51:52]
	v_add_f64 v[17:18], v[51:52], -v[49:50]
	v_fma_f64 v[8:9], v[8:9], -0.5, v[11:12]
	v_add_f64 v[11:12], v[11:12], v[45:46]
	ds_write_b128 v37, v[19:22] offset:144
	v_fma_f64 v[21:22], v[35:36], -0.5, v[13:14]
	v_add_f64 v[35:36], v[45:46], -v[47:48]
	ds_write_b128 v37, v[23:26] offset:288
	v_add_f64 v[23:24], v[29:30], v[33:34]
	v_add_f64 v[13:14], v[15:16], v[49:50]
	v_fma_f64 v[15:16], v[17:18], s[16:17], v[8:9]
	v_fma_f64 v[19:20], v[17:18], s[18:19], v[8:9]
	v_add_f64 v[8:9], v[27:28], v[31:32]
	v_add_f64 v[11:12], v[11:12], v[47:48]
	v_fma_f64 v[17:18], v[35:36], s[18:19], v[21:22]
	v_fma_f64 v[21:22], v[35:36], s[16:17], v[21:22]
	v_fma_f64 v[25:26], v[23:24], -0.5, v[39:40]
	v_add_f64 v[23:24], v[41:42], v[27:28]
	v_add_f64 v[35:36], v[39:40], v[29:30]
	v_add_f64 v[27:28], v[27:28], -v[31:32]
	v_fma_f64 v[8:9], v[8:9], -0.5, v[41:42]
	v_add_f64 v[29:30], v[29:30], -v[33:34]
	v_mad_u32_u24 v37, v55, s3, 0
	v_lshlrev_b32_sdwa v38, v10, v56 dst_sel:DWORD dst_unused:UNUSED_PAD src0_sel:DWORD src1_sel:BYTE_0
	v_add3_u32 v37, v37, v38, v7
	ds_write_b128 v37, v[11:14]
	v_add_f64 v[13:14], v[23:24], v[31:32]
	v_add_f64 v[11:12], v[35:36], v[33:34]
	v_fma_f64 v[23:24], v[27:28], s[16:17], v[25:26]
	v_fma_f64 v[27:28], v[27:28], s[18:19], v[25:26]
	;; [unrolled: 1-line block ×4, first 2 shown]
	v_lshlrev_b32_sdwa v8, v10, v58 dst_sel:DWORD dst_unused:UNUSED_PAD src0_sel:DWORD src1_sel:BYTE_0
	v_mad_u32_u24 v9, v57, s3, 0
	v_add3_u32 v7, v9, v8, v7
	ds_write_b128 v37, v[15:18] offset:144
	ds_write_b128 v37, v[19:22] offset:288
	ds_write_b128 v7, v[11:14]
	ds_write_b128 v7, v[23:26] offset:144
	ds_write_b128 v7, v[27:30] offset:288
	s_waitcnt lgkmcnt(0)
	s_barrier
	global_load_dwordx4 v[7:10], v4, s[8:9] offset:384
	global_load_dwordx4 v[11:14], v4, s[8:9] offset:400
	v_mul_lo_u16_e32 v15, 19, v6
	v_lshrrev_b16_e32 v15, 9, v15
	v_mul_lo_u16_e32 v15, 27, v15
	v_sub_u16_e32 v15, v6, v15
	v_and_b32_e32 v59, 0xff, v15
	v_lshlrev_b32_e32 v23, 5, v59
	global_load_dwordx4 v[15:18], v23, s[8:9] offset:384
	global_load_dwordx4 v[19:22], v23, s[8:9] offset:400
	ds_read_b128 v[23:26], v1 offset:1296
	ds_read_b128 v[27:30], v1 offset:864
	;; [unrolled: 1-line block ×6, first 2 shown]
	v_lshl_add_u32 v3, v59, 4, v3
	s_mul_i32 s3, s13, s1
	s_waitcnt vmcnt(3) lgkmcnt(5)
	v_mul_f64 v[47:48], v[25:26], v[9:10]
	v_mul_f64 v[49:50], v[23:24], v[9:10]
	s_waitcnt lgkmcnt(3)
	v_mul_f64 v[51:52], v[33:34], v[9:10]
	v_mul_f64 v[9:10], v[31:32], v[9:10]
	s_waitcnt vmcnt(2) lgkmcnt(2)
	v_mul_f64 v[53:54], v[37:38], v[13:14]
	v_mul_f64 v[55:56], v[35:36], v[13:14]
	v_fma_f64 v[47:48], v[23:24], v[7:8], -v[47:48]
	v_fma_f64 v[49:50], v[25:26], v[7:8], v[49:50]
	v_fma_f64 v[31:32], v[31:32], v[7:8], -v[51:52]
	v_fma_f64 v[33:34], v[33:34], v[7:8], v[9:10]
	s_waitcnt lgkmcnt(0)
	v_mul_f64 v[7:8], v[45:46], v[13:14]
	v_mul_f64 v[9:10], v[43:44], v[13:14]
	v_fma_f64 v[35:36], v[35:36], v[11:12], -v[53:54]
	s_waitcnt vmcnt(1)
	v_mul_f64 v[13:14], v[41:42], v[17:18]
	v_mul_f64 v[17:18], v[39:40], v[17:18]
	v_fma_f64 v[37:38], v[37:38], v[11:12], v[55:56]
	ds_read_b128 v[23:26], v1 offset:3456
	v_fma_f64 v[43:44], v[43:44], v[11:12], -v[7:8]
	v_fma_f64 v[45:46], v[45:46], v[11:12], v[9:10]
	ds_read_b128 v[7:10], v2
	v_add_f64 v[53:54], v[47:48], v[35:36]
	v_fma_f64 v[39:40], v[39:40], v[15:16], -v[13:14]
	ds_read_b128 v[11:14], v1 offset:432
	s_waitcnt vmcnt(0) lgkmcnt(2)
	v_mul_f64 v[51:52], v[25:26], v[21:22]
	v_mul_f64 v[21:22], v[23:24], v[21:22]
	v_fma_f64 v[41:42], v[41:42], v[15:16], v[17:18]
	v_add_f64 v[15:16], v[49:50], v[37:38]
	s_waitcnt lgkmcnt(1)
	v_add_f64 v[17:18], v[9:10], v[49:50]
	v_add_f64 v[55:56], v[7:8], v[47:48]
	v_add_f64 v[49:50], v[49:50], -v[37:38]
	v_fma_f64 v[53:54], v[53:54], -0.5, v[7:8]
	v_fma_f64 v[51:52], v[23:24], v[19:20], -v[51:52]
	v_fma_f64 v[57:58], v[25:26], v[19:20], v[21:22]
	v_add_f64 v[21:22], v[47:48], -v[35:36]
	v_fma_f64 v[23:24], v[15:16], -0.5, v[9:10]
	v_add_f64 v[9:10], v[17:18], v[37:38]
	v_add_f64 v[7:8], v[55:56], v[35:36]
	;; [unrolled: 1-line block ×3, first 2 shown]
	s_waitcnt lgkmcnt(0)
	v_add_f64 v[37:38], v[13:14], v[33:34]
	v_add_f64 v[25:26], v[31:32], v[43:44]
	;; [unrolled: 1-line block ×3, first 2 shown]
	v_fma_f64 v[15:16], v[49:50], s[16:17], v[53:54]
	v_fma_f64 v[19:20], v[49:50], s[18:19], v[53:54]
	v_add_f64 v[49:50], v[39:40], v[51:52]
	v_add_f64 v[33:34], v[33:34], -v[45:46]
	v_fma_f64 v[35:36], v[35:36], -0.5, v[13:14]
	v_add_f64 v[13:14], v[37:38], v[45:46]
	v_add_f64 v[37:38], v[41:42], v[57:58]
	v_fma_f64 v[25:26], v[25:26], -0.5, v[11:12]
	v_add_f64 v[11:12], v[47:48], v[43:44]
	v_add_f64 v[31:32], v[31:32], -v[43:44]
	v_add_f64 v[45:46], v[29:30], v[41:42]
	v_add_f64 v[47:48], v[27:28], v[39:40]
	v_fma_f64 v[43:44], v[49:50], -0.5, v[27:28]
	v_add_f64 v[41:42], v[41:42], -v[57:58]
	v_fma_f64 v[49:50], v[37:38], -0.5, v[29:30]
	v_add_f64 v[53:54], v[39:40], -v[51:52]
	v_fma_f64 v[17:18], v[21:22], s[18:19], v[23:24]
	v_fma_f64 v[21:22], v[21:22], s[16:17], v[23:24]
	;; [unrolled: 1-line block ×6, first 2 shown]
	v_add_f64 v[33:34], v[45:46], v[57:58]
	v_add_f64 v[31:32], v[47:48], v[51:52]
	v_fma_f64 v[35:36], v[41:42], s[16:17], v[43:44]
	v_fma_f64 v[37:38], v[53:54], s[18:19], v[49:50]
	;; [unrolled: 1-line block ×4, first 2 shown]
	s_barrier
	ds_write_b128 v1, v[7:10]
	ds_write_b128 v1, v[15:18] offset:432
	ds_write_b128 v1, v[19:22] offset:864
	;; [unrolled: 1-line block ×8, first 2 shown]
	s_waitcnt lgkmcnt(0)
	s_barrier
	global_load_dwordx4 v[7:10], v4, s[8:9] offset:1248
	global_load_dwordx4 v[11:14], v4, s[8:9] offset:1264
	v_lshlrev_b32_e32 v3, 5, v5
	global_load_dwordx4 v[15:18], v3, s[8:9] offset:1248
	global_load_dwordx4 v[19:22], v3, s[8:9] offset:1264
	v_lshlrev_b32_e32 v27, 5, v6
	global_load_dwordx4 v[3:6], v27, s[8:9] offset:1248
	global_load_dwordx4 v[23:26], v27, s[8:9] offset:1264
	ds_read_b128 v[27:30], v1 offset:1296
	ds_read_b128 v[31:34], v1 offset:864
	;; [unrolled: 1-line block ×6, first 2 shown]
	s_mul_hi_u32 s8, s12, s1
	s_add_i32 s8, s8, s3
	s_mul_i32 s3, s12, s1
	s_add_u32 s3, s3, s27
	s_addc_u32 s9, s8, 0
	s_mul_i32 s8, s11, s26
	s_mul_hi_u32 s11, s10, s26
	s_add_i32 s11, s11, s8
	s_mul_i32 s8, s10, s26
	s_add_u32 s8, s3, s8
	s_addc_u32 s9, s9, s11
	s_andn2_b64 vcc, exec, s[6:7]
	s_waitcnt vmcnt(5) lgkmcnt(5)
	v_mul_f64 v[51:52], v[29:30], v[9:10]
	s_waitcnt vmcnt(4) lgkmcnt(3)
	v_mul_f64 v[53:54], v[37:38], v[13:14]
	v_mul_f64 v[13:14], v[35:36], v[13:14]
	;; [unrolled: 1-line block ×3, first 2 shown]
	v_fma_f64 v[27:28], v[27:28], v[7:8], -v[51:52]
	s_waitcnt vmcnt(3) lgkmcnt(1)
	v_mul_f64 v[51:52], v[45:46], v[17:18]
	v_mul_f64 v[17:18], v[43:44], v[17:18]
	v_fma_f64 v[35:36], v[35:36], v[11:12], -v[53:54]
	v_fma_f64 v[37:38], v[37:38], v[11:12], v[13:14]
	s_waitcnt vmcnt(2)
	v_mul_f64 v[11:12], v[41:42], v[21:22]
	v_mul_f64 v[13:14], v[39:40], v[21:22]
	v_fma_f64 v[29:30], v[29:30], v[7:8], v[9:10]
	ds_read_b128 v[7:10], v1 offset:3456
	s_waitcnt vmcnt(1) lgkmcnt(1)
	v_mul_f64 v[21:22], v[49:50], v[5:6]
	v_mul_f64 v[5:6], v[47:48], v[5:6]
	v_fma_f64 v[43:44], v[43:44], v[15:16], -v[51:52]
	v_fma_f64 v[45:46], v[45:46], v[15:16], v[17:18]
	s_waitcnt vmcnt(0) lgkmcnt(0)
	v_mul_f64 v[51:52], v[9:10], v[25:26]
	v_mul_f64 v[25:26], v[7:8], v[25:26]
	v_fma_f64 v[39:40], v[39:40], v[19:20], -v[11:12]
	v_fma_f64 v[19:20], v[41:42], v[19:20], v[13:14]
	ds_read_b128 v[11:14], v2
	ds_read_b128 v[15:18], v1 offset:432
	v_fma_f64 v[21:22], v[47:48], v[3:4], -v[21:22]
	v_fma_f64 v[41:42], v[49:50], v[3:4], v[5:6]
	v_add_f64 v[2:3], v[27:28], v[35:36]
	v_add_f64 v[4:5], v[29:30], v[37:38]
	v_fma_f64 v[47:48], v[7:8], v[23:24], -v[51:52]
	v_fma_f64 v[23:24], v[9:10], v[23:24], v[25:26]
	s_waitcnt lgkmcnt(1)
	v_add_f64 v[6:7], v[13:14], v[29:30]
	v_add_f64 v[8:9], v[11:12], v[27:28]
	v_add_f64 v[25:26], v[29:30], -v[37:38]
	v_add_f64 v[29:30], v[43:44], v[39:40]
	v_add_f64 v[49:50], v[45:46], v[19:20]
	v_add_f64 v[27:28], v[27:28], -v[35:36]
	v_fma_f64 v[61:62], v[2:3], -0.5, v[11:12]
	v_fma_f64 v[63:64], v[4:5], -0.5, v[13:14]
	s_waitcnt lgkmcnt(0)
	v_add_f64 v[51:52], v[15:16], v[43:44]
	v_add_f64 v[53:54], v[17:18], v[45:46]
	v_add_f64 v[45:46], v[45:46], -v[19:20]
	v_add_f64 v[43:44], v[43:44], -v[39:40]
	v_add_f64 v[2:3], v[8:9], v[35:36]
	v_fma_f64 v[29:30], v[29:30], -0.5, v[15:16]
	v_fma_f64 v[35:36], v[49:50], -0.5, v[17:18]
	v_add_f64 v[55:56], v[21:22], v[47:48]
	v_add_f64 v[57:58], v[41:42], v[23:24]
	;; [unrolled: 1-line block ×3, first 2 shown]
	v_fma_f64 v[10:11], v[25:26], s[16:17], v[61:62]
	v_fma_f64 v[12:13], v[27:28], s[18:19], v[63:64]
	v_add_f64 v[6:7], v[51:52], v[39:40]
	v_add_f64 v[8:9], v[53:54], v[19:20]
	v_fma_f64 v[14:15], v[25:26], s[18:19], v[61:62]
	v_fma_f64 v[16:17], v[27:28], s[16:17], v[63:64]
	;; [unrolled: 1-line block ×4, first 2 shown]
	v_add_f64 v[59:60], v[31:32], v[21:22]
	v_add_f64 v[65:66], v[33:34], v[41:42]
	s_barrier
	v_fma_f64 v[27:28], v[55:56], -0.5, v[31:32]
	v_fma_f64 v[31:32], v[57:58], -0.5, v[33:34]
	ds_write_b128 v1, v[2:5]
	ds_write_b128 v1, v[6:9] offset:432
	ds_write_b128 v1, v[10:13] offset:1296
	;; [unrolled: 1-line block ×3, first 2 shown]
	ds_write2_b64 v1, v[18:19], v[25:26] offset0:216 offset1:217
	v_add_f64 v[8:9], v[41:42], -v[23:24]
	v_add_f64 v[10:11], v[21:22], -v[47:48]
	v_fma_f64 v[6:7], v[45:46], s[18:19], v[29:30]
	v_fma_f64 v[12:13], v[43:44], s[16:17], v[35:36]
	v_add_f64 v[2:3], v[59:60], v[47:48]
	v_add_f64 v[4:5], v[65:66], v[23:24]
	v_add_u32_e32 v18, 0x800, v1
	v_fma_f64 v[14:15], v[8:9], s[16:17], v[27:28]
	v_fma_f64 v[16:17], v[10:11], s[18:19], v[31:32]
	v_fma_f64 v[8:9], v[8:9], s[18:19], v[27:28]
	v_fma_f64 v[10:11], v[10:11], s[16:17], v[31:32]
	ds_write2_b64 v18, v[6:7], v[12:13] offset0:122 offset1:123
	ds_write_b128 v1, v[2:5] offset:864
	ds_write2_b64 v18, v[14:15], v[16:17] offset0:14 offset1:15
	ds_write2_b64 v18, v[8:9], v[10:11] offset0:176 offset1:177
	v_lshrrev_b32_e32 v9, 3, v0
	v_and_b32_e32 v10, 7, v0
	s_waitcnt lgkmcnt(0)
	s_barrier
	s_cbranch_vccnz .LBB0_10
; %bb.7:
	v_mad_u64_u32 v[2:3], s[6:7], s12, v10, 0
	v_mul_lo_u32 v7, v9, s2
	s_movk_i32 s3, 0xf40
	v_mov_b32_e32 v1, v3
	v_mad_u64_u32 v[3:4], s[6:7], s13, v10, v[1:2]
	s_lshl_b64 s[6:7], s[8:9], 4
	v_mad_u32_u24 v1, v10, s3, 0
	s_add_u32 s3, s4, s6
	v_lshlrev_b64 v[2:3], 4, v[2:3]
	v_lshl_add_u32 v4, v9, 4, v1
	s_addc_u32 s6, s5, s7
	v_mov_b32_e32 v8, 0
	ds_read_b128 v[11:14], v4
	ds_read_b128 v[15:18], v4 offset:432
	v_mov_b32_e32 v6, s6
	v_add_co_u32_e32 v5, vcc, s3, v2
	v_addc_co_u32_e32 v6, vcc, v6, v3, vcc
	v_lshlrev_b64 v[2:3], 4, v[7:8]
	s_mul_i32 s3, s2, 27
	v_add_co_u32_e32 v2, vcc, v5, v2
	v_addc_co_u32_e32 v3, vcc, v6, v3, vcc
	v_add_u32_e32 v7, s3, v7
	s_waitcnt lgkmcnt(1)
	global_store_dwordx4 v[2:3], v[11:14], off
	v_lshlrev_b64 v[2:3], 4, v[7:8]
	v_add_u32_e32 v7, s3, v7
	v_add_co_u32_e32 v2, vcc, v5, v2
	v_addc_co_u32_e32 v3, vcc, v6, v3, vcc
	ds_read_b128 v[11:14], v4 offset:864
	s_waitcnt lgkmcnt(1)
	global_store_dwordx4 v[2:3], v[15:18], off
	ds_read_b128 v[15:18], v4 offset:1296
	v_lshlrev_b64 v[2:3], 4, v[7:8]
	v_add_u32_e32 v7, s3, v7
	v_add_co_u32_e32 v2, vcc, v5, v2
	v_addc_co_u32_e32 v3, vcc, v6, v3, vcc
	s_waitcnt lgkmcnt(1)
	global_store_dwordx4 v[2:3], v[11:14], off
	v_lshlrev_b64 v[2:3], 4, v[7:8]
	v_add_u32_e32 v7, s3, v7
	v_add_co_u32_e32 v2, vcc, v5, v2
	v_addc_co_u32_e32 v3, vcc, v6, v3, vcc
	ds_read_b128 v[11:14], v4 offset:1728
	s_waitcnt lgkmcnt(1)
	global_store_dwordx4 v[2:3], v[15:18], off
	ds_read_b128 v[15:18], v4 offset:2160
	v_lshlrev_b64 v[2:3], 4, v[7:8]
	v_add_u32_e32 v7, s3, v7
	v_add_co_u32_e32 v2, vcc, v5, v2
	v_addc_co_u32_e32 v3, vcc, v6, v3, vcc
	;; [unrolled: 14-line block ×3, first 2 shown]
	s_waitcnt lgkmcnt(1)
	global_store_dwordx4 v[2:3], v[11:14], off
	v_lshlrev_b64 v[2:3], 4, v[7:8]
	v_add_u32_e32 v7, s3, v7
	v_add_co_u32_e32 v2, vcc, v5, v2
	v_addc_co_u32_e32 v3, vcc, v6, v3, vcc
	s_waitcnt lgkmcnt(0)
	global_store_dwordx4 v[2:3], v[15:18], off
	ds_read_b128 v[11:14], v4 offset:3456
	v_lshlrev_b64 v[2:3], 4, v[7:8]
	s_mov_b32 s11, 0
	v_add_co_u32_e32 v2, vcc, v5, v2
	v_addc_co_u32_e32 v3, vcc, v6, v3, vcc
	v_cmp_gt_u32_e32 vcc, 8, v0
	s_mov_b64 s[14:15], 0
	s_mov_b64 s[6:7], 0
	s_waitcnt lgkmcnt(0)
	global_store_dwordx4 v[2:3], v[11:14], off
                                        ; implicit-def: $vgpr3_vgpr4
                                        ; implicit-def: $vgpr7_vgpr8
	s_and_saveexec_b64 s[16:17], vcc
	s_cbranch_execz .LBB0_9
; %bb.8:
	ds_read_b128 v[1:4], v1 offset:3888
	s_mul_i32 s10, s2, 0xf3
	s_lshl_b64 s[10:11], s[10:11], 4
	v_mov_b32_e32 v8, s11
	v_add_co_u32_e32 v7, vcc, s10, v5
	s_mov_b64 s[6:7], exec
	v_addc_co_u32_e32 v8, vcc, v6, v8, vcc
	s_waitcnt lgkmcnt(0)
	global_store_dwordx2 v[7:8], v[1:2], off
.LBB0_9:
	s_or_b64 exec, exec, s[16:17]
	s_and_b64 vcc, exec, s[14:15]
	s_cbranch_vccnz .LBB0_11
	s_branch .LBB0_16
.LBB0_10:
	s_mov_b64 s[6:7], 0
                                        ; implicit-def: $vgpr3_vgpr4
                                        ; implicit-def: $vgpr7_vgpr8
	s_cbranch_execz .LBB0_16
.LBB0_11:
	v_or_b32_e32 v1, s1, v10
	v_cmp_gt_u32_e32 vcc, s0, v1
                                        ; implicit-def: $vgpr3_vgpr4
                                        ; implicit-def: $vgpr7_vgpr8
	s_and_saveexec_b64 s[10:11], vcc
	s_cbranch_execz .LBB0_15
; %bb.12:
	v_mad_u64_u32 v[2:3], s[14:15], s12, v10, 0
	v_mul_lo_u32 v5, v9, s2
	s_movk_i32 s1, 0xf40
	v_mov_b32_e32 v1, v3
	v_mad_u64_u32 v[3:4], s[12:13], s13, v10, v[1:2]
	s_lshl_b64 s[8:9], s[8:9], 4
	v_mad_u32_u24 v1, v10, s1, 0
	s_add_u32 s1, s4, s8
	v_lshlrev_b64 v[2:3], 4, v[2:3]
	v_lshl_add_u32 v4, v9, 4, v1
	s_addc_u32 s3, s5, s9
	v_mov_b32_e32 v6, 0
	ds_read_b128 v[11:14], v4
	ds_read_b128 v[15:18], v4 offset:432
	v_mov_b32_e32 v7, s3
	v_add_co_u32_e32 v9, vcc, s1, v2
	v_addc_co_u32_e32 v10, vcc, v7, v3, vcc
	v_lshlrev_b64 v[2:3], 4, v[5:6]
	s_mul_i32 s4, s2, 27
	v_add_co_u32_e32 v2, vcc, v9, v2
	v_addc_co_u32_e32 v3, vcc, v10, v3, vcc
	v_add_u32_e32 v5, s4, v5
	s_waitcnt lgkmcnt(1)
	global_store_dwordx4 v[2:3], v[11:14], off
	v_lshlrev_b64 v[2:3], 4, v[5:6]
	v_add_u32_e32 v5, s4, v5
	v_add_co_u32_e32 v2, vcc, v9, v2
	v_addc_co_u32_e32 v3, vcc, v10, v3, vcc
	ds_read_b128 v[11:14], v4 offset:864
	s_waitcnt lgkmcnt(1)
	global_store_dwordx4 v[2:3], v[15:18], off
	ds_read_b128 v[15:18], v4 offset:1296
	v_lshlrev_b64 v[2:3], 4, v[5:6]
	v_add_u32_e32 v5, s4, v5
	v_add_co_u32_e32 v2, vcc, v9, v2
	v_addc_co_u32_e32 v3, vcc, v10, v3, vcc
	s_waitcnt lgkmcnt(1)
	global_store_dwordx4 v[2:3], v[11:14], off
	v_lshlrev_b64 v[2:3], 4, v[5:6]
	v_add_u32_e32 v5, s4, v5
	v_add_co_u32_e32 v2, vcc, v9, v2
	v_addc_co_u32_e32 v3, vcc, v10, v3, vcc
	ds_read_b128 v[11:14], v4 offset:1728
	s_waitcnt lgkmcnt(1)
	global_store_dwordx4 v[2:3], v[15:18], off
	ds_read_b128 v[15:18], v4 offset:2160
	v_lshlrev_b64 v[2:3], 4, v[5:6]
	v_add_u32_e32 v5, s4, v5
	v_add_co_u32_e32 v2, vcc, v9, v2
	v_addc_co_u32_e32 v3, vcc, v10, v3, vcc
	;; [unrolled: 14-line block ×3, first 2 shown]
	s_waitcnt lgkmcnt(1)
	global_store_dwordx4 v[2:3], v[11:14], off
	v_lshlrev_b64 v[2:3], 4, v[5:6]
	v_add_u32_e32 v5, s4, v5
	v_add_co_u32_e32 v2, vcc, v9, v2
	v_addc_co_u32_e32 v3, vcc, v10, v3, vcc
	s_waitcnt lgkmcnt(0)
	global_store_dwordx4 v[2:3], v[15:18], off
	ds_read_b128 v[11:14], v4 offset:3456
	v_lshlrev_b64 v[2:3], 4, v[5:6]
	s_and_b32 s0, s0, 7
	v_add_co_u32_e32 v2, vcc, v9, v2
	v_addc_co_u32_e32 v3, vcc, v10, v3, vcc
	v_cmp_gt_u32_e32 vcc, s0, v0
	s_mov_b64 s[2:3], s[6:7]
	s_waitcnt lgkmcnt(0)
	global_store_dwordx4 v[2:3], v[11:14], off
                                        ; implicit-def: $vgpr3_vgpr4
                                        ; implicit-def: $vgpr7_vgpr8
	s_and_saveexec_b64 s[0:1], vcc
	s_cbranch_execz .LBB0_14
; %bb.13:
	v_add_u32_e32 v5, s4, v5
	ds_read_b128 v[1:4], v1 offset:3888
	v_lshlrev_b64 v[5:6], 4, v[5:6]
	s_or_b64 s[2:3], s[6:7], exec
	v_add_co_u32_e32 v7, vcc, v9, v5
	v_addc_co_u32_e32 v8, vcc, v10, v6, vcc
	s_waitcnt lgkmcnt(0)
	global_store_dwordx2 v[7:8], v[1:2], off
.LBB0_14:
	s_or_b64 exec, exec, s[0:1]
	s_andn2_b64 s[0:1], s[6:7], exec
	s_and_b64 s[2:3], s[2:3], exec
	s_or_b64 s[6:7], s[0:1], s[2:3]
.LBB0_15:
	s_or_b64 exec, exec, s[10:11]
.LBB0_16:
	s_and_saveexec_b64 s[0:1], s[6:7]
	s_cbranch_execnz .LBB0_18
; %bb.17:
	s_endpgm
.LBB0_18:
	global_store_dwordx2 v[7:8], v[3:4], off offset:8
	s_endpgm
	.section	.rodata,"a",@progbits
	.p2align	6, 0x0
	.amdhsa_kernel fft_rtc_fwd_len243_factors_3_3_3_3_3_wgs_216_tpt_27_dp_op_CI_CI_sbrc_erc_z_xy_unaligned_dirReg
		.amdhsa_group_segment_fixed_size 0
		.amdhsa_private_segment_fixed_size 0
		.amdhsa_kernarg_size 104
		.amdhsa_user_sgpr_count 6
		.amdhsa_user_sgpr_private_segment_buffer 1
		.amdhsa_user_sgpr_dispatch_ptr 0
		.amdhsa_user_sgpr_queue_ptr 0
		.amdhsa_user_sgpr_kernarg_segment_ptr 1
		.amdhsa_user_sgpr_dispatch_id 0
		.amdhsa_user_sgpr_flat_scratch_init 0
		.amdhsa_user_sgpr_private_segment_size 0
		.amdhsa_uses_dynamic_stack 0
		.amdhsa_system_sgpr_private_segment_wavefront_offset 0
		.amdhsa_system_sgpr_workgroup_id_x 1
		.amdhsa_system_sgpr_workgroup_id_y 0
		.amdhsa_system_sgpr_workgroup_id_z 0
		.amdhsa_system_sgpr_workgroup_info 0
		.amdhsa_system_vgpr_workitem_id 0
		.amdhsa_next_free_vgpr 67
		.amdhsa_next_free_sgpr 28
		.amdhsa_reserve_vcc 1
		.amdhsa_reserve_flat_scratch 0
		.amdhsa_float_round_mode_32 0
		.amdhsa_float_round_mode_16_64 0
		.amdhsa_float_denorm_mode_32 3
		.amdhsa_float_denorm_mode_16_64 3
		.amdhsa_dx10_clamp 1
		.amdhsa_ieee_mode 1
		.amdhsa_fp16_overflow 0
		.amdhsa_exception_fp_ieee_invalid_op 0
		.amdhsa_exception_fp_denorm_src 0
		.amdhsa_exception_fp_ieee_div_zero 0
		.amdhsa_exception_fp_ieee_overflow 0
		.amdhsa_exception_fp_ieee_underflow 0
		.amdhsa_exception_fp_ieee_inexact 0
		.amdhsa_exception_int_div_zero 0
	.end_amdhsa_kernel
	.text
.Lfunc_end0:
	.size	fft_rtc_fwd_len243_factors_3_3_3_3_3_wgs_216_tpt_27_dp_op_CI_CI_sbrc_erc_z_xy_unaligned_dirReg, .Lfunc_end0-fft_rtc_fwd_len243_factors_3_3_3_3_3_wgs_216_tpt_27_dp_op_CI_CI_sbrc_erc_z_xy_unaligned_dirReg
                                        ; -- End function
	.section	.AMDGPU.csdata,"",@progbits
; Kernel info:
; codeLenInByte = 7096
; NumSgprs: 32
; NumVgprs: 67
; ScratchSize: 0
; MemoryBound: 0
; FloatMode: 240
; IeeeMode: 1
; LDSByteSize: 0 bytes/workgroup (compile time only)
; SGPRBlocks: 3
; VGPRBlocks: 16
; NumSGPRsForWavesPerEU: 32
; NumVGPRsForWavesPerEU: 67
; Occupancy: 3
; WaveLimiterHint : 1
; COMPUTE_PGM_RSRC2:SCRATCH_EN: 0
; COMPUTE_PGM_RSRC2:USER_SGPR: 6
; COMPUTE_PGM_RSRC2:TRAP_HANDLER: 0
; COMPUTE_PGM_RSRC2:TGID_X_EN: 1
; COMPUTE_PGM_RSRC2:TGID_Y_EN: 0
; COMPUTE_PGM_RSRC2:TGID_Z_EN: 0
; COMPUTE_PGM_RSRC2:TIDIG_COMP_CNT: 0
	.type	__hip_cuid_ddc68919a2512f1b,@object ; @__hip_cuid_ddc68919a2512f1b
	.section	.bss,"aw",@nobits
	.globl	__hip_cuid_ddc68919a2512f1b
__hip_cuid_ddc68919a2512f1b:
	.byte	0                               ; 0x0
	.size	__hip_cuid_ddc68919a2512f1b, 1

	.ident	"AMD clang version 19.0.0git (https://github.com/RadeonOpenCompute/llvm-project roc-6.4.0 25133 c7fe45cf4b819c5991fe208aaa96edf142730f1d)"
	.section	".note.GNU-stack","",@progbits
	.addrsig
	.addrsig_sym __hip_cuid_ddc68919a2512f1b
	.amdgpu_metadata
---
amdhsa.kernels:
  - .args:
      - .actual_access:  read_only
        .address_space:  global
        .offset:         0
        .size:           8
        .value_kind:     global_buffer
      - .offset:         8
        .size:           8
        .value_kind:     by_value
      - .actual_access:  read_only
        .address_space:  global
        .offset:         16
        .size:           8
        .value_kind:     global_buffer
      - .actual_access:  read_only
        .address_space:  global
        .offset:         24
        .size:           8
        .value_kind:     global_buffer
      - .actual_access:  read_only
        .address_space:  global
        .offset:         32
        .size:           8
        .value_kind:     global_buffer
      - .offset:         40
        .size:           8
        .value_kind:     by_value
      - .actual_access:  read_only
        .address_space:  global
        .offset:         48
        .size:           8
        .value_kind:     global_buffer
      - .actual_access:  read_only
        .address_space:  global
        .offset:         56
        .size:           8
        .value_kind:     global_buffer
      - .offset:         64
        .size:           4
        .value_kind:     by_value
      - .actual_access:  read_only
        .address_space:  global
        .offset:         72
        .size:           8
        .value_kind:     global_buffer
      - .actual_access:  read_only
        .address_space:  global
        .offset:         80
        .size:           8
        .value_kind:     global_buffer
      - .actual_access:  read_only
        .address_space:  global
        .offset:         88
        .size:           8
        .value_kind:     global_buffer
      - .actual_access:  write_only
        .address_space:  global
        .offset:         96
        .size:           8
        .value_kind:     global_buffer
    .group_segment_fixed_size: 0
    .kernarg_segment_align: 8
    .kernarg_segment_size: 104
    .language:       OpenCL C
    .language_version:
      - 2
      - 0
    .max_flat_workgroup_size: 216
    .name:           fft_rtc_fwd_len243_factors_3_3_3_3_3_wgs_216_tpt_27_dp_op_CI_CI_sbrc_erc_z_xy_unaligned_dirReg
    .private_segment_fixed_size: 0
    .sgpr_count:     32
    .sgpr_spill_count: 0
    .symbol:         fft_rtc_fwd_len243_factors_3_3_3_3_3_wgs_216_tpt_27_dp_op_CI_CI_sbrc_erc_z_xy_unaligned_dirReg.kd
    .uniform_work_group_size: 1
    .uses_dynamic_stack: false
    .vgpr_count:     67
    .vgpr_spill_count: 0
    .wavefront_size: 64
amdhsa.target:   amdgcn-amd-amdhsa--gfx906
amdhsa.version:
  - 1
  - 2
...

	.end_amdgpu_metadata
